;; amdgpu-corpus repo=ROCm/rocFFT kind=compiled arch=gfx906 opt=O3
	.text
	.amdgcn_target "amdgcn-amd-amdhsa--gfx906"
	.amdhsa_code_object_version 6
	.protected	fft_rtc_back_len352_factors_11_2_16_wgs_64_tpt_32_half_op_CI_CI_unitstride_sbrr_C2R_dirReg ; -- Begin function fft_rtc_back_len352_factors_11_2_16_wgs_64_tpt_32_half_op_CI_CI_unitstride_sbrr_C2R_dirReg
	.globl	fft_rtc_back_len352_factors_11_2_16_wgs_64_tpt_32_half_op_CI_CI_unitstride_sbrr_C2R_dirReg
	.p2align	8
	.type	fft_rtc_back_len352_factors_11_2_16_wgs_64_tpt_32_half_op_CI_CI_unitstride_sbrr_C2R_dirReg,@function
fft_rtc_back_len352_factors_11_2_16_wgs_64_tpt_32_half_op_CI_CI_unitstride_sbrr_C2R_dirReg: ; @fft_rtc_back_len352_factors_11_2_16_wgs_64_tpt_32_half_op_CI_CI_unitstride_sbrr_C2R_dirReg
; %bb.0:
	s_load_dwordx4 s[8:11], s[4:5], 0x58
	s_load_dwordx4 s[12:15], s[4:5], 0x0
	;; [unrolled: 1-line block ×3, first 2 shown]
	v_lshrrev_b32_e32 v1, 5, v0
	v_mov_b32_e32 v8, 0
	v_mov_b32_e32 v6, 0
	s_waitcnt lgkmcnt(0)
	v_cmp_lt_u64_e64 s[0:1], s[14:15], 2
	v_lshl_or_b32 v10, s6, 1, v1
	v_mov_b32_e32 v11, v8
	s_and_b64 vcc, exec, s[0:1]
	v_mov_b32_e32 v7, 0
	s_cbranch_vccnz .LBB0_8
; %bb.1:
	s_load_dwordx2 s[0:1], s[4:5], 0x10
	s_add_u32 s2, s18, 8
	s_addc_u32 s3, s19, 0
	s_add_u32 s6, s16, 8
	s_addc_u32 s7, s17, 0
	v_mov_b32_e32 v6, 0
	s_waitcnt lgkmcnt(0)
	s_add_u32 s20, s0, 8
	v_mov_b32_e32 v7, 0
	v_mov_b32_e32 v1, v6
	s_addc_u32 s21, s1, 0
	s_mov_b64 s[22:23], 1
	v_mov_b32_e32 v2, v7
.LBB0_2:                                ; =>This Inner Loop Header: Depth=1
	s_load_dwordx2 s[24:25], s[20:21], 0x0
                                        ; implicit-def: $vgpr3_vgpr4
	s_waitcnt lgkmcnt(0)
	v_or_b32_e32 v9, s25, v11
	v_cmp_ne_u64_e32 vcc, 0, v[8:9]
	s_and_saveexec_b64 s[0:1], vcc
	s_xor_b64 s[26:27], exec, s[0:1]
	s_cbranch_execz .LBB0_4
; %bb.3:                                ;   in Loop: Header=BB0_2 Depth=1
	v_cvt_f32_u32_e32 v3, s24
	v_cvt_f32_u32_e32 v4, s25
	s_sub_u32 s0, 0, s24
	s_subb_u32 s1, 0, s25
	v_mac_f32_e32 v3, 0x4f800000, v4
	v_rcp_f32_e32 v3, v3
	v_mul_f32_e32 v3, 0x5f7ffffc, v3
	v_mul_f32_e32 v4, 0x2f800000, v3
	v_trunc_f32_e32 v4, v4
	v_mac_f32_e32 v3, 0xcf800000, v4
	v_cvt_u32_f32_e32 v4, v4
	v_cvt_u32_f32_e32 v3, v3
	v_mul_lo_u32 v5, s0, v4
	v_mul_hi_u32 v9, s0, v3
	v_mul_lo_u32 v13, s1, v3
	v_mul_lo_u32 v12, s0, v3
	v_add_u32_e32 v5, v9, v5
	v_add_u32_e32 v5, v5, v13
	v_mul_hi_u32 v9, v3, v12
	v_mul_lo_u32 v13, v3, v5
	v_mul_hi_u32 v15, v3, v5
	v_mul_hi_u32 v14, v4, v12
	v_mul_lo_u32 v12, v4, v12
	v_mul_hi_u32 v16, v4, v5
	v_add_co_u32_e32 v9, vcc, v9, v13
	v_addc_co_u32_e32 v13, vcc, 0, v15, vcc
	v_mul_lo_u32 v5, v4, v5
	v_add_co_u32_e32 v9, vcc, v9, v12
	v_addc_co_u32_e32 v9, vcc, v13, v14, vcc
	v_addc_co_u32_e32 v12, vcc, 0, v16, vcc
	v_add_co_u32_e32 v5, vcc, v9, v5
	v_addc_co_u32_e32 v9, vcc, 0, v12, vcc
	v_add_co_u32_e32 v3, vcc, v3, v5
	v_addc_co_u32_e32 v4, vcc, v4, v9, vcc
	v_mul_lo_u32 v5, s0, v4
	v_mul_hi_u32 v9, s0, v3
	v_mul_lo_u32 v12, s1, v3
	v_mul_lo_u32 v13, s0, v3
	v_add_u32_e32 v5, v9, v5
	v_add_u32_e32 v5, v5, v12
	v_mul_lo_u32 v14, v3, v5
	v_mul_hi_u32 v15, v3, v13
	v_mul_hi_u32 v16, v3, v5
	v_mul_hi_u32 v12, v4, v13
	v_mul_lo_u32 v13, v4, v13
	v_mul_hi_u32 v9, v4, v5
	v_add_co_u32_e32 v14, vcc, v15, v14
	v_addc_co_u32_e32 v15, vcc, 0, v16, vcc
	v_mul_lo_u32 v5, v4, v5
	v_add_co_u32_e32 v13, vcc, v14, v13
	v_addc_co_u32_e32 v12, vcc, v15, v12, vcc
	v_addc_co_u32_e32 v9, vcc, 0, v9, vcc
	v_add_co_u32_e32 v5, vcc, v12, v5
	v_addc_co_u32_e32 v9, vcc, 0, v9, vcc
	v_add_co_u32_e32 v5, vcc, v3, v5
	v_addc_co_u32_e32 v9, vcc, v4, v9, vcc
	v_mad_u64_u32 v[3:4], s[0:1], v10, v9, 0
	v_mul_hi_u32 v12, v10, v5
	v_add_co_u32_e32 v14, vcc, v12, v3
	v_addc_co_u32_e32 v15, vcc, 0, v4, vcc
	v_mad_u64_u32 v[3:4], s[0:1], v11, v5, 0
	v_mad_u64_u32 v[12:13], s[0:1], v11, v9, 0
	v_add_co_u32_e32 v3, vcc, v14, v3
	v_addc_co_u32_e32 v3, vcc, v15, v4, vcc
	v_addc_co_u32_e32 v4, vcc, 0, v13, vcc
	v_add_co_u32_e32 v5, vcc, v3, v12
	v_addc_co_u32_e32 v9, vcc, 0, v4, vcc
	v_mul_lo_u32 v12, s25, v5
	v_mul_lo_u32 v13, s24, v9
	v_mad_u64_u32 v[3:4], s[0:1], s24, v5, 0
	v_add3_u32 v4, v4, v13, v12
	v_sub_u32_e32 v12, v11, v4
	v_mov_b32_e32 v13, s25
	v_sub_co_u32_e32 v3, vcc, v10, v3
	v_subb_co_u32_e64 v12, s[0:1], v12, v13, vcc
	v_subrev_co_u32_e64 v13, s[0:1], s24, v3
	v_subbrev_co_u32_e64 v12, s[0:1], 0, v12, s[0:1]
	v_cmp_le_u32_e64 s[0:1], s25, v12
	v_cndmask_b32_e64 v14, 0, -1, s[0:1]
	v_cmp_le_u32_e64 s[0:1], s24, v13
	v_cndmask_b32_e64 v13, 0, -1, s[0:1]
	v_cmp_eq_u32_e64 s[0:1], s25, v12
	v_cndmask_b32_e64 v12, v14, v13, s[0:1]
	v_add_co_u32_e64 v13, s[0:1], 2, v5
	v_addc_co_u32_e64 v14, s[0:1], 0, v9, s[0:1]
	v_add_co_u32_e64 v15, s[0:1], 1, v5
	v_addc_co_u32_e64 v16, s[0:1], 0, v9, s[0:1]
	v_subb_co_u32_e32 v4, vcc, v11, v4, vcc
	v_cmp_ne_u32_e64 s[0:1], 0, v12
	v_cmp_le_u32_e32 vcc, s25, v4
	v_cndmask_b32_e64 v12, v16, v14, s[0:1]
	v_cndmask_b32_e64 v14, 0, -1, vcc
	v_cmp_le_u32_e32 vcc, s24, v3
	v_cndmask_b32_e64 v3, 0, -1, vcc
	v_cmp_eq_u32_e32 vcc, s25, v4
	v_cndmask_b32_e32 v3, v14, v3, vcc
	v_cmp_ne_u32_e32 vcc, 0, v3
	v_cndmask_b32_e64 v3, v15, v13, s[0:1]
	v_cndmask_b32_e32 v4, v9, v12, vcc
	v_cndmask_b32_e32 v3, v5, v3, vcc
.LBB0_4:                                ;   in Loop: Header=BB0_2 Depth=1
	s_andn2_saveexec_b64 s[0:1], s[26:27]
	s_cbranch_execz .LBB0_6
; %bb.5:                                ;   in Loop: Header=BB0_2 Depth=1
	v_cvt_f32_u32_e32 v3, s24
	s_sub_i32 s26, 0, s24
	v_rcp_iflag_f32_e32 v3, v3
	v_mul_f32_e32 v3, 0x4f7ffffe, v3
	v_cvt_u32_f32_e32 v3, v3
	v_mul_lo_u32 v4, s26, v3
	v_mul_hi_u32 v4, v3, v4
	v_add_u32_e32 v3, v3, v4
	v_mul_hi_u32 v3, v10, v3
	v_mul_lo_u32 v4, v3, s24
	v_add_u32_e32 v5, 1, v3
	v_sub_u32_e32 v4, v10, v4
	v_subrev_u32_e32 v9, s24, v4
	v_cmp_le_u32_e32 vcc, s24, v4
	v_cndmask_b32_e32 v4, v4, v9, vcc
	v_cndmask_b32_e32 v3, v3, v5, vcc
	v_add_u32_e32 v5, 1, v3
	v_cmp_le_u32_e32 vcc, s24, v4
	v_cndmask_b32_e32 v3, v3, v5, vcc
	v_mov_b32_e32 v4, v8
.LBB0_6:                                ;   in Loop: Header=BB0_2 Depth=1
	s_or_b64 exec, exec, s[0:1]
	v_mul_lo_u32 v5, v4, s24
	v_mul_lo_u32 v9, v3, s25
	v_mad_u64_u32 v[12:13], s[0:1], v3, s24, 0
	s_load_dwordx2 s[0:1], s[6:7], 0x0
	s_load_dwordx2 s[24:25], s[2:3], 0x0
	v_add3_u32 v5, v13, v9, v5
	v_sub_co_u32_e32 v9, vcc, v10, v12
	v_subb_co_u32_e32 v5, vcc, v11, v5, vcc
	s_waitcnt lgkmcnt(0)
	v_mul_lo_u32 v10, s0, v5
	v_mul_lo_u32 v11, s1, v9
	v_mad_u64_u32 v[6:7], s[0:1], s0, v9, v[6:7]
	s_add_u32 s22, s22, 1
	s_addc_u32 s23, s23, 0
	s_add_u32 s2, s2, 8
	v_mul_lo_u32 v5, s24, v5
	v_mul_lo_u32 v12, s25, v9
	v_mad_u64_u32 v[1:2], s[0:1], s24, v9, v[1:2]
	v_add3_u32 v7, v11, v7, v10
	s_addc_u32 s3, s3, 0
	v_mov_b32_e32 v9, s14
	s_add_u32 s6, s6, 8
	v_mov_b32_e32 v10, s15
	s_addc_u32 s7, s7, 0
	v_cmp_ge_u64_e32 vcc, s[22:23], v[9:10]
	s_add_u32 s20, s20, 8
	v_add3_u32 v2, v12, v2, v5
	s_addc_u32 s21, s21, 0
	s_cbranch_vccnz .LBB0_9
; %bb.7:                                ;   in Loop: Header=BB0_2 Depth=1
	v_mov_b32_e32 v11, v4
	v_mov_b32_e32 v10, v3
	s_branch .LBB0_2
.LBB0_8:
	v_mov_b32_e32 v1, v6
	v_mov_b32_e32 v3, v10
	;; [unrolled: 1-line block ×4, first 2 shown]
.LBB0_9:
	s_load_dwordx2 s[2:3], s[4:5], 0x28
	s_lshl_b64 s[6:7], s[14:15], 3
	s_add_u32 s14, s18, s6
	v_and_b32_e32 v5, 32, v0
	s_addc_u32 s15, s19, s7
	s_waitcnt lgkmcnt(0)
	v_cmp_gt_u64_e32 vcc, s[2:3], v[3:4]
	v_cmp_le_u64_e64 s[2:3], s[2:3], v[3:4]
	v_cmp_ne_u32_e64 s[0:1], 0, v5
	v_mov_b32_e32 v8, 0x161
	v_and_b32_e32 v5, 31, v0
	s_and_saveexec_b64 s[4:5], s[2:3]
	s_xor_b64 s[2:3], exec, s[4:5]
; %bb.10:
	v_and_b32_e32 v5, 31, v0
                                        ; implicit-def: $vgpr6_vgpr7
; %bb.11:
	s_or_saveexec_b64 s[4:5], s[2:3]
	s_load_dwordx2 s[2:3], s[14:15], 0x0
	v_cndmask_b32_e64 v0, 0, v8, s[0:1]
	v_lshlrev_b32_e32 v15, 2, v0
	s_xor_b64 exec, exec, s[4:5]
	s_cbranch_execz .LBB0_15
; %bb.12:
	s_add_u32 s0, s16, s6
	s_addc_u32 s1, s17, s7
	s_load_dwordx2 s[0:1], s[0:1], 0x0
	v_mov_b32_e32 v12, s9
	v_lshlrev_b64 v[6:7], 2, v[6:7]
	s_waitcnt lgkmcnt(0)
	v_mul_lo_u32 v10, s1, v3
	v_mul_lo_u32 v11, s0, v4
	v_mad_u64_u32 v[8:9], s[0:1], s0, v3, 0
	v_add3_u32 v9, v9, v11, v10
	v_lshlrev_b64 v[8:9], 2, v[8:9]
	v_lshlrev_b32_e32 v10, 2, v5
	v_add_co_u32_e64 v8, s[0:1], s8, v8
	v_addc_co_u32_e64 v9, s[0:1], v12, v9, s[0:1]
	v_add_co_u32_e64 v6, s[0:1], v8, v6
	v_addc_co_u32_e64 v7, s[0:1], v9, v7, s[0:1]
	v_add_co_u32_e64 v8, s[0:1], v6, v10
	v_addc_co_u32_e64 v9, s[0:1], 0, v7, s[0:1]
	global_load_dword v11, v[8:9], off
	global_load_dword v12, v[8:9], off offset:128
	global_load_dword v13, v[8:9], off offset:256
	;; [unrolled: 1-line block ×10, first 2 shown]
	v_add3_u32 v8, 0, v15, v10
	v_cmp_eq_u32_e64 s[0:1], 31, v5
	v_add_u32_e32 v9, 0x400, v8
	s_waitcnt vmcnt(9)
	ds_write2_b32 v8, v11, v12 offset1:32
	s_waitcnt vmcnt(7)
	ds_write2_b32 v8, v13, v14 offset0:64 offset1:96
	s_waitcnt vmcnt(5)
	ds_write2_b32 v8, v16, v17 offset0:128 offset1:160
	;; [unrolled: 2-line block ×3, first 2 shown]
	s_waitcnt vmcnt(1)
	ds_write2_b32 v9, v20, v21 offset1:32
	s_waitcnt vmcnt(0)
	ds_write_b32 v8, v22 offset:1280
	s_and_saveexec_b64 s[6:7], s[0:1]
	s_cbranch_execz .LBB0_14
; %bb.13:
	global_load_dword v5, v[6:7], off offset:1408
	s_waitcnt vmcnt(0)
	ds_write_b32 v8, v5 offset:1284
	v_mov_b32_e32 v5, 31
.LBB0_14:
	s_or_b64 exec, exec, s[6:7]
.LBB0_15:
	s_or_b64 exec, exec, s[4:5]
	v_lshl_add_u32 v0, v0, 2, 0
	v_lshlrev_b32_e32 v8, 2, v5
	v_add_u32_e32 v20, v0, v8
	s_waitcnt lgkmcnt(0)
	; wave barrier
	s_waitcnt lgkmcnt(0)
	v_sub_u32_e32 v9, v0, v8
	ds_read_u16 v12, v20
	ds_read_u16 v13, v9 offset:1408
	v_cmp_ne_u32_e64 s[0:1], 0, v5
                                        ; implicit-def: $vgpr6_vgpr7
	s_waitcnt lgkmcnt(0)
	v_add_f16_e32 v10, v13, v12
	v_sub_f16_e32 v11, v12, v13
	s_and_saveexec_b64 s[4:5], s[0:1]
	s_xor_b64 s[4:5], exec, s[4:5]
	s_cbranch_execz .LBB0_17
; %bb.16:
	v_mov_b32_e32 v6, 0
	v_lshlrev_b64 v[10:11], 2, v[5:6]
	v_mov_b32_e32 v7, s13
	v_add_co_u32_e64 v10, s[0:1], s12, v10
	v_addc_co_u32_e64 v11, s[0:1], v7, v11, s[0:1]
	global_load_dword v7, v[10:11], off offset:1364
	ds_read_u16 v10, v9 offset:1410
	ds_read_u16 v11, v20 offset:2
	v_add_f16_e32 v14, v13, v12
	v_sub_f16_e32 v12, v12, v13
	s_waitcnt lgkmcnt(0)
	v_add_f16_e32 v13, v10, v11
	v_sub_f16_e32 v10, v11, v10
	s_waitcnt vmcnt(0)
	v_lshrrev_b32_e32 v11, 16, v7
	v_fma_f16 v16, v12, v11, v14
	v_fma_f16 v17, v13, v11, v10
	v_fma_f16 v14, -v12, v11, v14
	v_fma_f16 v18, v13, v11, -v10
	v_fma_f16 v10, -v7, v13, v16
	v_fma_f16 v11, v12, v7, v17
	v_fma_f16 v13, v7, v13, v14
	v_fma_f16 v7, v12, v7, v18
	v_pack_b32_f16 v7, v13, v7
	ds_write_b32 v9, v7 offset:1408
	v_mov_b32_e32 v7, v6
	v_mov_b32_e32 v6, v5
.LBB0_17:
	s_andn2_saveexec_b64 s[0:1], s[4:5]
	s_cbranch_execz .LBB0_19
; %bb.18:
	ds_read_b32 v6, v0 offset:704
	s_mov_b32 s4, 0xc0004000
	s_waitcnt lgkmcnt(0)
	v_pk_mul_f16 v12, v6, s4
	v_mov_b32_e32 v6, 0
	v_mov_b32_e32 v7, 0
	ds_write_b32 v0, v12 offset:704
.LBB0_19:
	s_or_b64 exec, exec, s[0:1]
	s_add_u32 s0, s12, 0x554
	v_lshlrev_b64 v[6:7], 2, v[6:7]
	s_addc_u32 s1, s13, 0
	v_mov_b32_e32 v12, s1
	v_add_co_u32_e64 v6, s[0:1], s0, v6
	v_addc_co_u32_e64 v7, s[0:1], v12, v7, s[0:1]
	global_load_dword v12, v[6:7], off offset:128
	global_load_dword v13, v[6:7], off offset:256
	;; [unrolled: 1-line block ×4, first 2 shown]
	s_mov_b32 s0, 0x5040100
	v_perm_b32 v10, v11, v10, s0
	ds_write_b32 v20, v10
	ds_read_b32 v10, v20 offset:128
	ds_read_b32 v11, v9 offset:1280
	s_movk_i32 s0, 0xb0
	s_waitcnt lgkmcnt(0)
	v_add_f16_e32 v17, v10, v11
	v_add_f16_sdwa v18, v11, v10 dst_sel:DWORD dst_unused:UNUSED_PAD src0_sel:WORD_1 src1_sel:WORD_1
	v_sub_f16_e32 v19, v10, v11
	v_sub_f16_sdwa v10, v10, v11 dst_sel:DWORD dst_unused:UNUSED_PAD src0_sel:WORD_1 src1_sel:WORD_1
	s_waitcnt vmcnt(3)
	v_lshrrev_b32_e32 v11, 16, v12
	v_fma_f16 v21, v19, v11, v17
	v_fma_f16 v22, v18, v11, v10
	v_fma_f16 v17, -v19, v11, v17
	v_fma_f16 v10, v18, v11, -v10
	v_fma_f16 v11, -v12, v18, v21
	v_fma_f16 v21, v19, v12, v22
	v_fma_f16 v17, v12, v18, v17
	;; [unrolled: 1-line block ×3, first 2 shown]
	v_pack_b32_f16 v11, v11, v21
	v_pack_b32_f16 v10, v17, v10
	ds_write_b32 v20, v11 offset:128
	ds_write_b32 v9, v10 offset:1280
	ds_read_b32 v10, v20 offset:256
	ds_read_b32 v11, v9 offset:1152
	s_waitcnt vmcnt(2)
	v_lshrrev_b32_e32 v12, 16, v13
	s_waitcnt lgkmcnt(0)
	v_add_f16_e32 v17, v10, v11
	v_add_f16_sdwa v18, v11, v10 dst_sel:DWORD dst_unused:UNUSED_PAD src0_sel:WORD_1 src1_sel:WORD_1
	v_sub_f16_e32 v19, v10, v11
	v_sub_f16_sdwa v10, v10, v11 dst_sel:DWORD dst_unused:UNUSED_PAD src0_sel:WORD_1 src1_sel:WORD_1
	v_fma_f16 v11, v19, v12, v17
	v_fma_f16 v21, v18, v12, v10
	v_fma_f16 v17, -v19, v12, v17
	v_fma_f16 v10, v18, v12, -v10
	v_fma_f16 v11, -v13, v18, v11
	v_fma_f16 v12, v19, v13, v21
	v_fma_f16 v17, v13, v18, v17
	;; [unrolled: 1-line block ×3, first 2 shown]
	v_pack_b32_f16 v11, v11, v12
	v_pack_b32_f16 v10, v17, v10
	ds_write_b32 v20, v11 offset:256
	ds_write_b32 v9, v10 offset:1152
	ds_read_b32 v10, v20 offset:384
	ds_read_b32 v11, v9 offset:1024
	s_waitcnt vmcnt(1)
	v_lshrrev_b32_e32 v12, 16, v14
	s_waitcnt lgkmcnt(0)
	v_add_f16_e32 v13, v10, v11
	v_add_f16_sdwa v17, v11, v10 dst_sel:DWORD dst_unused:UNUSED_PAD src0_sel:WORD_1 src1_sel:WORD_1
	v_sub_f16_e32 v18, v10, v11
	v_sub_f16_sdwa v10, v10, v11 dst_sel:DWORD dst_unused:UNUSED_PAD src0_sel:WORD_1 src1_sel:WORD_1
	v_fma_f16 v11, v18, v12, v13
	v_fma_f16 v19, v17, v12, v10
	v_fma_f16 v13, -v18, v12, v13
	v_fma_f16 v10, v17, v12, -v10
	v_fma_f16 v11, -v14, v17, v11
	v_fma_f16 v12, v18, v14, v19
	v_fma_f16 v13, v14, v17, v13
	;; [unrolled: 1-line block ×3, first 2 shown]
	v_pack_b32_f16 v11, v11, v12
	v_pack_b32_f16 v10, v13, v10
	ds_write_b32 v20, v11 offset:384
	ds_write_b32 v9, v10 offset:1024
	ds_read_b32 v11, v20 offset:512
	ds_read_b32 v12, v9 offset:896
	s_waitcnt vmcnt(0)
	v_lshrrev_b32_e32 v13, 16, v16
	v_or_b32_e32 v10, 0xa0, v5
	v_cmp_gt_u32_e64 s[0:1], s0, v10
	s_waitcnt lgkmcnt(0)
	v_add_f16_e32 v14, v11, v12
	v_add_f16_sdwa v17, v12, v11 dst_sel:DWORD dst_unused:UNUSED_PAD src0_sel:WORD_1 src1_sel:WORD_1
	v_sub_f16_e32 v18, v11, v12
	v_sub_f16_sdwa v11, v11, v12 dst_sel:DWORD dst_unused:UNUSED_PAD src0_sel:WORD_1 src1_sel:WORD_1
	v_fma_f16 v12, v18, v13, v14
	v_fma_f16 v19, v17, v13, v11
	v_fma_f16 v14, -v18, v13, v14
	v_fma_f16 v11, v17, v13, -v11
	v_fma_f16 v12, -v16, v17, v12
	v_fma_f16 v13, v18, v16, v19
	v_fma_f16 v14, v16, v17, v14
	;; [unrolled: 1-line block ×3, first 2 shown]
	v_pack_b32_f16 v12, v12, v13
	v_pack_b32_f16 v11, v14, v11
	ds_write_b32 v20, v12 offset:512
	ds_write_b32 v9, v11 offset:896
	s_and_saveexec_b64 s[4:5], s[0:1]
	s_cbranch_execz .LBB0_21
; %bb.20:
	global_load_dword v6, v[6:7], off offset:640
	ds_read_b32 v7, v20 offset:640
	ds_read_b32 v11, v9 offset:768
	s_waitcnt lgkmcnt(0)
	v_add_f16_e32 v12, v7, v11
	v_add_f16_sdwa v13, v11, v7 dst_sel:DWORD dst_unused:UNUSED_PAD src0_sel:WORD_1 src1_sel:WORD_1
	v_sub_f16_e32 v14, v7, v11
	v_sub_f16_sdwa v7, v7, v11 dst_sel:DWORD dst_unused:UNUSED_PAD src0_sel:WORD_1 src1_sel:WORD_1
	s_waitcnt vmcnt(0)
	v_lshrrev_b32_e32 v11, 16, v6
	v_fma_f16 v16, v14, v11, v12
	v_fma_f16 v17, v13, v11, v7
	v_fma_f16 v12, -v14, v11, v12
	v_fma_f16 v7, v13, v11, -v7
	v_fma_f16 v11, -v6, v13, v16
	v_fma_f16 v16, v14, v6, v17
	v_fma_f16 v12, v6, v13, v12
	v_fma_f16 v6, v14, v6, v7
	v_pack_b32_f16 v7, v11, v16
	v_pack_b32_f16 v6, v12, v6
	ds_write_b32 v20, v7 offset:640
	ds_write_b32 v9, v6 offset:768
.LBB0_21:
	s_or_b64 exec, exec, s[4:5]
	v_add3_u32 v21, 0, v8, v15
	s_waitcnt lgkmcnt(0)
	; wave barrier
	s_waitcnt lgkmcnt(0)
	s_waitcnt lgkmcnt(0)
	; wave barrier
	s_waitcnt lgkmcnt(0)
	ds_read_b32 v6, v20
	ds_read2_b32 v[8:9], v21 offset0:32 offset1:64
	ds_read2_b32 v[11:12], v21 offset0:96 offset1:128
	;; [unrolled: 1-line block ×3, first 2 shown]
	v_add_u32_e32 v7, 0x200, v21
	ds_read2_b32 v[16:17], v7 offset0:96 offset1:128
	s_waitcnt lgkmcnt(3)
	v_pk_add_f16 v19, v6, v8
	v_pk_add_f16 v19, v19, v9
	v_add_u32_e32 v18, 0x400, v21
	s_waitcnt lgkmcnt(2)
	v_pk_add_f16 v19, v19, v11
	v_pk_add_f16 v19, v19, v12
	s_waitcnt lgkmcnt(0)
	v_pk_add_f16 v22, v17, v11
	v_pk_add_f16 v23, v11, v17 neg_lo:[0,1] neg_hi:[0,1]
	v_pk_add_f16 v24, v16, v12
	v_pk_add_f16 v25, v12, v16 neg_lo:[0,1] neg_hi:[0,1]
	ds_read2_b32 v[11:12], v18 offset0:32 offset1:64
	v_pk_add_f16 v18, v19, v13
	v_pk_add_f16 v18, v18, v14
	v_pk_add_f16 v16, v18, v16
	v_pk_add_f16 v16, v16, v17
	s_waitcnt lgkmcnt(0)
	v_pk_add_f16 v17, v12, v8
	v_pk_add_f16 v8, v8, v12 neg_lo:[0,1] neg_hi:[0,1]
	v_pk_add_f16 v18, v11, v9
	v_pk_add_f16 v9, v9, v11 neg_lo:[0,1] neg_hi:[0,1]
	v_pk_add_f16 v11, v16, v11
	s_mov_b32 s14, 0xb853
	v_pk_add_f16 v11, v11, v12
	v_pk_mul_f16 v12, v8, s14 op_sel_hi:[1,0]
	s_movk_i32 s0, 0x3abb
	s_mov_b32 s1, 0xbb47
	v_pk_fma_f16 v16, v17, s0, v12 op_sel:[0,0,1] op_sel_hi:[1,0,0]
	v_pk_fma_f16 v12, v17, s0, v12 op_sel:[0,0,1] op_sel_hi:[1,0,0] neg_lo:[0,0,1] neg_hi:[0,0,1]
	s_mov_b32 s6, 0xffff
	s_movk_i32 s4, 0x36a6
	v_pk_mul_f16 v26, v9, s1 op_sel_hi:[1,0]
	v_bfi_b32 v19, s6, v16, v12
	v_pk_fma_f16 v27, v18, s4, v26 op_sel:[0,0,1] op_sel_hi:[1,0,0]
	v_pk_fma_f16 v26, v18, s4, v26 op_sel:[0,0,1] op_sel_hi:[1,0,0] neg_lo:[0,0,1] neg_hi:[0,0,1]
	v_pk_add_f16 v19, v6, v19
	v_bfi_b32 v28, s6, v27, v26
	s_mov_b32 s7, 0xbbeb
	v_pk_add_f16 v19, v28, v19
	s_mov_b32 s5, 0xb08e
	v_pk_mul_f16 v28, v23, s7 op_sel_hi:[1,0]
	v_pk_fma_f16 v29, v22, s5, v28 op_sel:[0,0,1] op_sel_hi:[1,0,0]
	v_pk_fma_f16 v28, v22, s5, v28 op_sel:[0,0,1] op_sel_hi:[1,0,0] neg_lo:[0,0,1] neg_hi:[0,0,1]
	v_bfi_b32 v30, s6, v29, v28
	s_mov_b32 s8, 0xba0c
	v_pk_add_f16 v19, v30, v19
	s_mov_b32 s9, 0xb93d
	v_pk_mul_f16 v30, v25, s8 op_sel_hi:[1,0]
	v_pk_fma_f16 v31, v24, s9, v30 op_sel:[0,0,1] op_sel_hi:[1,0,0]
	v_pk_fma_f16 v30, v24, s9, v30 op_sel:[0,0,1] op_sel_hi:[1,0,0] neg_lo:[0,0,1] neg_hi:[0,0,1]
	v_bfi_b32 v32, s6, v31, v30
	v_pk_add_f16 v19, v32, v19
	v_pk_add_f16 v32, v14, v13
	v_pk_add_f16 v13, v13, v14 neg_lo:[0,1] neg_hi:[0,1]
	s_mov_b32 s16, 0xb482
	s_mov_b32 s15, 0xbbad
	v_pk_mul_f16 v14, v13, s16 op_sel_hi:[1,0]
	v_pk_fma_f16 v33, v32, s15, v14 op_sel:[0,0,1] op_sel_hi:[1,0,0]
	v_pk_fma_f16 v14, v32, s15, v14 op_sel:[0,0,1] op_sel_hi:[1,0,0] neg_lo:[0,0,1] neg_hi:[0,0,1]
	v_bfi_b32 v34, s6, v33, v14
	v_pk_add_f16 v19, v34, v19
	v_mad_u32_u24 v34, v5, 40, v21
	s_waitcnt lgkmcnt(0)
	; wave barrier
	ds_write2_b32 v34, v11, v19 offset1:1
	v_mul_f16_sdwa v11, v8, s1 dst_sel:DWORD dst_unused:UNUSED_PAD src0_sel:WORD_1 src1_sel:DWORD
	v_fma_f16 v19, v17, s4, v11
	v_mul_f16_sdwa v35, v9, s8 dst_sel:DWORD dst_unused:UNUSED_PAD src0_sel:WORD_1 src1_sel:DWORD
	v_add_f16_e32 v19, v6, v19
	v_fma_f16 v36, v18, s9, v35
	v_add_f16_e32 v19, v36, v19
	s_movk_i32 s17, 0x3b47
	v_mul_f16_sdwa v36, v17, s4 dst_sel:DWORD dst_unused:UNUSED_PAD src0_sel:WORD_1 src1_sel:DWORD
	v_fma_f16 v37, v8, s17, v36
	s_movk_i32 s18, 0x3a0c
	v_mul_f16_sdwa v38, v18, s9 dst_sel:DWORD dst_unused:UNUSED_PAD src0_sel:WORD_1 src1_sel:DWORD
	v_add_f16_sdwa v37, v6, v37 dst_sel:DWORD dst_unused:UNUSED_PAD src0_sel:WORD_1 src1_sel:DWORD
	v_fma_f16 v39, v9, s18, v38
	v_add_f16_e32 v37, v39, v37
	v_mul_f16_sdwa v39, v8, s7 dst_sel:DWORD dst_unused:UNUSED_PAD src0_sel:WORD_1 src1_sel:DWORD
	s_movk_i32 s19, 0x3482
	v_fma_f16 v40, v17, s5, v39
	v_mul_f16_sdwa v41, v9, s19 dst_sel:DWORD dst_unused:UNUSED_PAD src0_sel:WORD_1 src1_sel:DWORD
	v_add_f16_e32 v40, v6, v40
	v_fma_f16 v42, v18, s15, v41
	v_add_f16_e32 v40, v42, v40
	s_movk_i32 s20, 0x3beb
	v_mul_f16_sdwa v42, v17, s5 dst_sel:DWORD dst_unused:UNUSED_PAD src0_sel:WORD_1 src1_sel:DWORD
	v_fma_f16 v43, v8, s20, v42
	v_mul_f16_sdwa v44, v18, s15 dst_sel:DWORD dst_unused:UNUSED_PAD src0_sel:WORD_1 src1_sel:DWORD
	v_add_f16_sdwa v43, v6, v43 dst_sel:DWORD dst_unused:UNUSED_PAD src0_sel:WORD_1 src1_sel:DWORD
	v_fma_f16 v45, v9, s16, v44
	v_add_f16_e32 v43, v45, v43
	v_mul_f16_sdwa v45, v23, s19 dst_sel:DWORD dst_unused:UNUSED_PAD src0_sel:WORD_1 src1_sel:DWORD
	v_fma_f16 v46, v22, s15, v45
	v_add_f16_e32 v19, v46, v19
	v_mul_f16_sdwa v46, v22, s15 dst_sel:DWORD dst_unused:UNUSED_PAD src0_sel:WORD_1 src1_sel:DWORD
	;; [unrolled: 3-line block ×7, first 2 shown]
	v_fma_f16 v52, v24, s0, v51
	v_add_f16_e32 v40, v52, v40
	s_movk_i32 s21, 0x3853
	v_mul_f16_sdwa v52, v24, s0 dst_sel:DWORD dst_unused:UNUSED_PAD src0_sel:WORD_1 src1_sel:DWORD
	v_fma_f16 v53, v25, s21, v52
	v_add_f16_e32 v43, v53, v43
	v_mul_f16_sdwa v53, v13, s21 dst_sel:DWORD dst_unused:UNUSED_PAD src0_sel:WORD_1 src1_sel:DWORD
	v_fma_f16 v54, v32, s0, v53
	v_add_f16_e32 v19, v54, v19
	;; [unrolled: 3-line block ×5, first 2 shown]
	v_pack_b32_f16 v40, v40, v43
	v_pack_b32_f16 v19, v19, v37
	ds_write2_b32 v34, v19, v40 offset0:2 offset1:3
	v_pk_mul_f16 v19, v17, s15 op_sel_hi:[1,0]
	v_pk_fma_f16 v37, v8, s16, v19 op_sel:[0,0,1] op_sel_hi:[1,0,0]
	v_pk_mul_f16 v43, v18, s0 op_sel_hi:[1,0]
	v_pk_fma_f16 v19, v8, s16, v19 op_sel:[0,0,1] op_sel_hi:[1,0,0] neg_lo:[1,0,0] neg_hi:[1,0,0]
	v_alignbit_b32 v40, s0, v6, 16
	v_pk_fma_f16 v57, v9, s21, v43 op_sel:[0,0,1] op_sel_hi:[1,0,0]
	v_pk_add_f16 v19, v6, v19 op_sel:[1,0] op_sel_hi:[0,1]
	v_pk_fma_f16 v43, v9, s21, v43 op_sel:[0,0,1] op_sel_hi:[1,0,0] neg_lo:[1,0,0] neg_hi:[1,0,0]
	v_pk_add_f16 v40, v40, v37
	v_pk_add_f16 v19, v43, v19
	v_pk_mul_f16 v43, v22, s9 op_sel_hi:[1,0]
	v_alignbit_b32 v37, s0, v37, 16
	v_alignbit_b32 v58, s0, v57, 16
	v_pk_add_f16 v40, v57, v40
	v_pk_fma_f16 v57, v23, s8, v43 op_sel:[0,0,1] op_sel_hi:[1,0,0]
	v_pk_fma_f16 v43, v23, s8, v43 op_sel:[0,0,1] op_sel_hi:[1,0,0] neg_lo:[1,0,0] neg_hi:[1,0,0]
	v_pk_add_f16 v37, v6, v37
	v_pk_add_f16 v19, v43, v19
	v_pk_mul_f16 v43, v24, s4 op_sel_hi:[1,0]
	v_pk_add_f16 v37, v58, v37
	v_alignbit_b32 v58, s0, v57, 16
	v_pk_add_f16 v40, v57, v40
	v_pk_fma_f16 v57, v25, s17, v43 op_sel:[0,0,1] op_sel_hi:[1,0,0]
	v_pk_fma_f16 v43, v25, s17, v43 op_sel:[0,0,1] op_sel_hi:[1,0,0] neg_lo:[1,0,0] neg_hi:[1,0,0]
	v_pk_add_f16 v19, v43, v19
	v_pk_mul_f16 v43, v32, s5 op_sel_hi:[1,0]
	v_pk_add_f16 v37, v58, v37
	v_alignbit_b32 v58, s0, v57, 16
	v_pk_add_f16 v40, v57, v40
	v_pk_fma_f16 v57, v13, s7, v43 op_sel:[0,0,1] op_sel_hi:[1,0,0]
	v_pk_add_f16 v37, v58, v37
	v_alignbit_b32 v58, s0, v57, 16
	v_pk_fma_f16 v43, v13, s7, v43 op_sel:[0,0,1] op_sel_hi:[1,0,0] neg_lo:[1,0,0] neg_hi:[1,0,0]
	v_pk_add_f16 v37, v58, v37
	v_pk_add_f16 v19, v43, v19
	;; [unrolled: 1-line block ×3, first 2 shown]
	v_alignbit_b32 v40, v40, v19, 16
	v_pack_b32_f16 v19, v37, v19
	ds_write2_b32 v34, v19, v40 offset0:5 offset1:6
	v_fma_f16 v19, v17, s5, -v39
	v_add_f16_e32 v19, v6, v19
	v_fma_f16 v37, v18, s15, -v41
	v_add_f16_e32 v19, v37, v19
	v_fma_f16 v37, v8, s7, v42
	v_add_f16_sdwa v37, v6, v37 dst_sel:DWORD dst_unused:UNUSED_PAD src0_sel:WORD_1 src1_sel:DWORD
	v_fma_f16 v39, v9, s19, v44
	v_add_f16_e32 v37, v39, v37
	v_mul_f16_sdwa v39, v8, s8 dst_sel:DWORD dst_unused:UNUSED_PAD src0_sel:WORD_1 src1_sel:DWORD
	v_fma_f16 v40, v17, s9, -v39
	v_mul_f16_sdwa v41, v9, s20 dst_sel:DWORD dst_unused:UNUSED_PAD src0_sel:WORD_1 src1_sel:DWORD
	v_fma_f16 v47, v22, s4, -v47
	v_add_f16_e32 v40, v6, v40
	v_fma_f16 v42, v18, s5, -v41
	v_add_f16_e32 v19, v47, v19
	v_fma_f16 v47, v23, s17, v48
	v_fma_f16 v51, v24, s0, -v51
	v_add_f16_e32 v40, v42, v40
	v_mul_f16_sdwa v42, v17, s9 dst_sel:DWORD dst_unused:UNUSED_PAD src0_sel:WORD_1 src1_sel:DWORD
	v_add_f16_e32 v37, v47, v37
	v_mul_f16_sdwa v47, v23, s14 dst_sel:DWORD dst_unused:UNUSED_PAD src0_sel:WORD_1 src1_sel:DWORD
	v_add_f16_e32 v19, v51, v19
	v_fma_f16 v51, v25, s14, v52
	v_fma_f16 v55, v32, s9, -v55
	v_fma_f16 v43, v8, s8, v42
	v_mul_f16_sdwa v44, v18, s5 dst_sel:DWORD dst_unused:UNUSED_PAD src0_sel:WORD_1 src1_sel:DWORD
	v_fma_f16 v48, v22, s0, -v47
	v_add_f16_e32 v37, v51, v37
	v_mul_f16_sdwa v51, v25, s16 dst_sel:DWORD dst_unused:UNUSED_PAD src0_sel:WORD_1 src1_sel:DWORD
	v_add_f16_e32 v19, v55, v19
	v_fma_f16 v55, v13, s8, v56
	v_add_f16_sdwa v43, v6, v43 dst_sel:DWORD dst_unused:UNUSED_PAD src0_sel:WORD_1 src1_sel:DWORD
	v_fma_f16 v57, v9, s20, v44
	v_add_f16_e32 v40, v48, v40
	v_mul_f16_sdwa v48, v22, s0 dst_sel:DWORD dst_unused:UNUSED_PAD src0_sel:WORD_1 src1_sel:DWORD
	v_fma_f16 v52, v24, s15, -v51
	v_add_f16_e32 v37, v55, v37
	v_mul_f16_sdwa v55, v13, s17 dst_sel:DWORD dst_unused:UNUSED_PAD src0_sel:WORD_1 src1_sel:DWORD
	v_add_f16_e32 v43, v57, v43
	v_fma_f16 v57, v23, s14, v48
	v_add_f16_e32 v40, v52, v40
	v_mul_f16_sdwa v52, v24, s15 dst_sel:DWORD dst_unused:UNUSED_PAD src0_sel:WORD_1 src1_sel:DWORD
	v_fma_f16 v56, v32, s4, -v55
	v_add_f16_e32 v43, v57, v43
	v_fma_f16 v57, v25, s16, v52
	v_add_f16_e32 v40, v56, v40
	v_mul_f16_sdwa v56, v32, s4 dst_sel:DWORD dst_unused:UNUSED_PAD src0_sel:WORD_1 src1_sel:DWORD
	v_add_f16_e32 v43, v57, v43
	v_fma_f16 v57, v13, s17, v56
	v_add_f16_e32 v43, v57, v43
	v_pack_b32_f16 v19, v19, v37
	v_pack_b32_f16 v37, v40, v43
	v_fma_f16 v11, v17, s4, -v11
	v_fma_f16 v17, v17, s9, v39
	ds_write2_b32 v34, v37, v19 offset0:7 offset1:8
	v_fma_f16 v19, v8, s1, v36
	v_fma_f16 v8, v8, s18, v42
	v_add_f16_e32 v11, v6, v11
	v_fma_f16 v35, v18, s9, -v35
	v_fma_f16 v18, v18, s5, v41
	v_add_f16_e32 v17, v6, v17
	v_add_f16_e32 v11, v35, v11
	v_fma_f16 v35, v9, s8, v38
	v_add_f16_e32 v17, v18, v17
	v_fma_f16 v9, v9, s7, v44
	v_add_f16_sdwa v8, v6, v8 dst_sel:DWORD dst_unused:UNUSED_PAD src0_sel:WORD_1 src1_sel:DWORD
	v_fma_f16 v18, v22, s0, v47
	v_add_f16_sdwa v19, v6, v19 dst_sel:DWORD dst_unused:UNUSED_PAD src0_sel:WORD_1 src1_sel:DWORD
	v_add_f16_e32 v8, v9, v8
	v_fma_f16 v9, v22, s15, -v45
	v_add_f16_e32 v17, v18, v17
	v_fma_f16 v18, v23, s21, v48
	v_add_f16_e32 v19, v35, v19
	v_add_f16_e32 v9, v9, v11
	v_fma_f16 v11, v23, s19, v46
	v_add_f16_e32 v8, v18, v8
	v_fma_f16 v18, v24, s5, -v49
	v_add_f16_e32 v11, v11, v19
	v_add_f16_e32 v9, v18, v9
	v_fma_f16 v18, v25, s20, v50
	v_add_f16_e32 v11, v18, v11
	v_fma_f16 v18, v24, s15, v51
	;; [unrolled: 2-line block ×3, first 2 shown]
	v_add_f16_e32 v8, v18, v8
	v_fma_f16 v18, v32, s0, -v53
	v_add_f16_e32 v9, v18, v9
	v_fma_f16 v18, v13, s21, v54
	v_add_f16_e32 v11, v18, v11
	v_fma_f16 v18, v32, s4, v55
	v_fma_f16 v13, v13, s1, v56
	v_add_f16_e32 v17, v18, v17
	v_add_f16_e32 v8, v13, v8
	v_pack_b32_f16 v8, v17, v8
	ds_write_b32 v34, v8 offset:16
	v_bfi_b32 v8, s6, v12, v16
	v_pk_add_f16 v6, v6, v8
	v_bfi_b32 v8, s6, v26, v27
	v_pk_add_f16 v6, v8, v6
	;; [unrolled: 2-line block ×5, first 2 shown]
	v_pack_b32_f16 v8, v9, v11
	ds_write2_b32 v34, v8, v6 offset0:9 offset1:10
	s_waitcnt lgkmcnt(0)
	; wave barrier
	s_waitcnt lgkmcnt(0)
	ds_read2_b32 v[16:17], v21 offset0:176 offset1:208
	ds_read2_b32 v[13:14], v21 offset0:32 offset1:64
	;; [unrolled: 1-line block ×4, first 2 shown]
	ds_read_b32 v22, v20
	ds_read_b32 v11, v21 offset:1216
	v_lshrrev_b32_e32 v23, 16, v6
	v_cmp_gt_u32_e64 s[0:1], 16, v5
                                        ; implicit-def: $vgpr12
	s_and_saveexec_b64 s[4:5], s[0:1]
	s_cbranch_execz .LBB0_23
; %bb.22:
	ds_read2_b32 v[6:7], v7 offset0:32 offset1:208
	s_waitcnt lgkmcnt(0)
	v_lshrrev_b32_e32 v23, 16, v6
	v_lshrrev_b32_e32 v12, 16, v7
.LBB0_23:
	s_or_b64 exec, exec, s[4:5]
	s_movk_i32 s4, 0x75
	v_mul_lo_u16_sdwa v24, v5, s4 dst_sel:DWORD dst_unused:UNUSED_PAD src0_sel:BYTE_0 src1_sel:DWORD
	v_sub_u16_sdwa v25, v5, v24 dst_sel:DWORD dst_unused:UNUSED_PAD src0_sel:DWORD src1_sel:BYTE_1
	v_lshrrev_b16_e32 v25, 1, v25
	v_and_b32_e32 v25, 0x7f, v25
	v_add_u16_sdwa v24, v25, v24 dst_sel:DWORD dst_unused:UNUSED_PAD src0_sel:DWORD src1_sel:BYTE_1
	v_lshrrev_b16_e32 v25, 3, v24
	v_or_b32_e32 v28, 32, v5
	v_mul_lo_u16_e32 v24, 11, v25
	v_mul_lo_u16_sdwa v29, v28, s4 dst_sel:DWORD dst_unused:UNUSED_PAD src0_sel:BYTE_0 src1_sel:DWORD
	v_sub_u16_e32 v27, v5, v24
	v_sub_u16_sdwa v24, v28, v29 dst_sel:DWORD dst_unused:UNUSED_PAD src0_sel:DWORD src1_sel:BYTE_1
	v_lshrrev_b16_e32 v30, 1, v24
	v_or_b32_e32 v24, 0x80, v5
	v_mul_lo_u16_sdwa v26, v24, s4 dst_sel:DWORD dst_unused:UNUSED_PAD src0_sel:BYTE_0 src1_sel:DWORD
	v_sub_u16_sdwa v31, v24, v26 dst_sel:DWORD dst_unused:UNUSED_PAD src0_sel:DWORD src1_sel:BYTE_1
	v_lshrrev_b16_e32 v31, 1, v31
	v_and_b32_e32 v31, 0x7f, v31
	v_add_u16_sdwa v26, v31, v26 dst_sel:DWORD dst_unused:UNUSED_PAD src0_sel:DWORD src1_sel:BYTE_1
	v_lshrrev_b16_e32 v31, 3, v26
	v_mul_lo_u16_e32 v26, 11, v31
	v_sub_u16_e32 v32, v24, v26
	v_mul_lo_u16_sdwa v24, v10, s4 dst_sel:DWORD dst_unused:UNUSED_PAD src0_sel:BYTE_0 src1_sel:DWORD
	v_sub_u16_sdwa v26, v10, v24 dst_sel:DWORD dst_unused:UNUSED_PAD src0_sel:DWORD src1_sel:BYTE_1
	v_lshrrev_b16_e32 v26, 1, v26
	v_or_b32_e32 v39, 0x60, v5
	v_and_b32_e32 v26, 0x7f, v26
	v_mul_lo_u16_sdwa v40, v39, s4 dst_sel:DWORD dst_unused:UNUSED_PAD src0_sel:BYTE_0 src1_sel:DWORD
	v_add_u16_sdwa v24, v26, v24 dst_sel:DWORD dst_unused:UNUSED_PAD src0_sel:DWORD src1_sel:BYTE_1
	v_sub_u16_sdwa v41, v39, v40 dst_sel:DWORD dst_unused:UNUSED_PAD src0_sel:DWORD src1_sel:BYTE_1
	v_lshrrev_b16_e32 v24, 3, v24
	v_lshrrev_b16_e32 v41, 1, v41
	v_mul_lo_u16_e32 v26, 11, v24
	v_or_b32_e32 v36, 64, v5
	v_and_b32_e32 v41, 0x7f, v41
	v_sub_u16_e32 v10, v10, v26
	v_mov_b32_e32 v33, 2
	v_mul_lo_u16_sdwa v37, v36, s4 dst_sel:DWORD dst_unused:UNUSED_PAD src0_sel:BYTE_0 src1_sel:DWORD
	v_add_u16_sdwa v40, v41, v40 dst_sel:DWORD dst_unused:UNUSED_PAD src0_sel:DWORD src1_sel:BYTE_1
	v_lshlrev_b32_sdwa v26, v33, v10 dst_sel:DWORD dst_unused:UNUSED_PAD src0_sel:DWORD src1_sel:BYTE_0
	v_lshlrev_b32_sdwa v10, v33, v27 dst_sel:DWORD dst_unused:UNUSED_PAD src0_sel:DWORD src1_sel:BYTE_0
	v_sub_u16_sdwa v38, v36, v37 dst_sel:DWORD dst_unused:UNUSED_PAD src0_sel:DWORD src1_sel:BYTE_1
	v_lshrrev_b16_e32 v40, 3, v40
	global_load_dword v27, v26, s[12:13]
	v_lshlrev_b32_sdwa v32, v33, v32 dst_sel:DWORD dst_unused:UNUSED_PAD src0_sel:DWORD src1_sel:BYTE_0
	global_load_dword v34, v10, s[12:13]
	global_load_dword v35, v32, s[12:13]
	v_lshrrev_b16_e32 v38, 1, v38
	v_mul_lo_u16_e32 v41, 11, v40
	v_and_b32_e32 v38, 0x7f, v38
	v_sub_u16_e32 v39, v39, v41
	v_lshlrev_b32_sdwa v39, v33, v39 dst_sel:DWORD dst_unused:UNUSED_PAD src0_sel:DWORD src1_sel:BYTE_0
	v_add_u16_sdwa v37, v38, v37 dst_sel:DWORD dst_unused:UNUSED_PAD src0_sel:DWORD src1_sel:BYTE_1
	global_load_dword v41, v39, s[12:13]
	v_lshrrev_b16_e32 v37, 3, v37
	v_mul_lo_u16_e32 v38, 11, v37
	v_and_b32_e32 v30, 0x7f, v30
	v_sub_u16_e32 v36, v36, v38
	v_lshlrev_b32_sdwa v36, v33, v36 dst_sel:DWORD dst_unused:UNUSED_PAD src0_sel:DWORD src1_sel:BYTE_0
	global_load_dword v38, v36, s[12:13]
	v_add_u16_sdwa v29, v30, v29 dst_sel:DWORD dst_unused:UNUSED_PAD src0_sel:DWORD src1_sel:BYTE_1
	v_lshrrev_b16_e32 v29, 3, v29
	v_mul_lo_u16_e32 v30, 11, v29
	v_sub_u16_e32 v28, v28, v30
	v_lshlrev_b32_sdwa v28, v33, v28 dst_sel:DWORD dst_unused:UNUSED_PAD src0_sel:DWORD src1_sel:BYTE_0
	global_load_dword v30, v28, s[12:13]
	s_movk_i32 s7, 0x58
	v_mad_u32_u24 v25, v25, s7, 0
	v_mad_u32_u24 v29, v29, s7, 0
	;; [unrolled: 1-line block ×4, first 2 shown]
	v_add3_u32 v40, v25, v10, v15
	v_add3_u32 v28, v29, v28, v15
	;; [unrolled: 1-line block ×4, first 2 shown]
	s_waitcnt lgkmcnt(0)
	; wave barrier
	s_waitcnt vmcnt(5) lgkmcnt(0)
	v_mul_f16_sdwa v10, v12, v27 dst_sel:DWORD dst_unused:UNUSED_PAD src0_sel:DWORD src1_sel:WORD_1
	v_mul_f16_sdwa v25, v7, v27 dst_sel:DWORD dst_unused:UNUSED_PAD src0_sel:DWORD src1_sel:WORD_1
	s_waitcnt vmcnt(4)
	v_pk_mul_f16 v36, v34, v16 op_sel:[0,1]
	s_waitcnt vmcnt(3)
	v_pk_mul_f16 v37, v35, v11 op_sel:[0,1]
	v_fma_f16 v7, v7, v27, v10
	v_fma_f16 v10, v12, v27, -v25
	v_pk_fma_f16 v12, v34, v16, v36 op_sel:[0,0,1] op_sel_hi:[1,0,0] neg_lo:[1,0,0] neg_hi:[1,0,0]
	v_pk_fma_f16 v16, v34, v16, v36 op_sel:[0,0,1] op_sel_hi:[1,0,0]
	v_pk_fma_f16 v25, v35, v11, v37 op_sel:[0,0,1] op_sel_hi:[1,0,0] neg_lo:[1,0,0] neg_hi:[1,0,0]
	v_pk_fma_f16 v11, v35, v11, v37 op_sel:[0,0,1] op_sel_hi:[1,0,0]
	v_bfi_b32 v16, s6, v16, v12
	v_bfi_b32 v11, s6, v11, v25
	v_sub_f16_e32 v12, v6, v7
	v_sub_f16_e32 v25, v23, v10
	v_pk_add_f16 v10, v19, v11 neg_lo:[0,1] neg_hi:[0,1]
	v_fma_f16 v11, v6, 2.0, -v12
	s_waitcnt vmcnt(2)
	v_pk_mul_f16 v6, v41, v9 op_sel:[0,1]
	v_pk_fma_f16 v7, v19, 2.0, v10 op_sel_hi:[1,0,1] neg_lo:[0,0,1] neg_hi:[0,0,1]
	v_pk_fma_f16 v19, v41, v9, v6 op_sel:[0,0,1] op_sel_hi:[1,1,0]
	v_pk_fma_f16 v6, v41, v9, v6 op_sel:[0,0,1] op_sel_hi:[1,0,0] neg_lo:[1,0,0] neg_hi:[1,0,0]
	v_bfi_b32 v6, s6, v19, v6
	v_pk_add_f16 v6, v18, v6 neg_lo:[0,1] neg_hi:[0,1]
	v_pk_fma_f16 v9, v18, 2.0, v6 op_sel_hi:[1,0,1] neg_lo:[0,0,1] neg_hi:[0,0,1]
	s_waitcnt vmcnt(1)
	v_pk_mul_f16 v18, v38, v8 op_sel:[0,1]
	v_pk_fma_f16 v19, v38, v8, v18 op_sel:[0,0,1] op_sel_hi:[1,1,0]
	v_pk_fma_f16 v8, v38, v8, v18 op_sel:[0,0,1] op_sel_hi:[1,0,0] neg_lo:[1,0,0] neg_hi:[1,0,0]
	v_bfi_b32 v8, s6, v19, v8
	v_pk_add_f16 v8, v14, v8 neg_lo:[0,1] neg_hi:[0,1]
	v_pk_fma_f16 v19, v14, 2.0, v8 op_sel_hi:[1,0,1] neg_lo:[0,0,1] neg_hi:[0,0,1]
	s_waitcnt vmcnt(0)
	v_pk_mul_f16 v14, v30, v17 op_sel:[0,1]
	v_pk_fma_f16 v18, v30, v17, v14 op_sel:[0,0,1] op_sel_hi:[1,1,0]
	v_pk_fma_f16 v14, v30, v17, v14 op_sel:[0,0,1] op_sel_hi:[1,0,0] neg_lo:[1,0,0] neg_hi:[1,0,0]
	v_bfi_b32 v14, s6, v18, v14
	v_pk_add_f16 v18, v13, v14 neg_lo:[0,1] neg_hi:[0,1]
	v_pk_add_f16 v16, v22, v16 neg_lo:[0,1] neg_hi:[0,1]
	v_pk_fma_f16 v17, v13, 2.0, v18 op_sel_hi:[1,0,1] neg_lo:[0,0,1] neg_hi:[0,0,1]
	v_mad_u32_u24 v13, v31, s7, 0
	v_fma_f16 v23, v23, 2.0, -v25
	v_pk_fma_f16 v22, v22, 2.0, v16 op_sel_hi:[1,0,1] neg_lo:[0,0,1] neg_hi:[0,0,1]
	v_add3_u32 v13, v13, v32, v15
	ds_write2_b32 v40, v22, v16 offset1:11
	ds_write2_b32 v28, v17, v18 offset1:11
	;; [unrolled: 1-line block ×5, first 2 shown]
	s_and_saveexec_b64 s[4:5], s[0:1]
	s_cbranch_execz .LBB0_25
; %bb.24:
	v_mad_u32_u24 v13, v24, s7, 0
	s_mov_b32 s0, 0x5040100
	v_add3_u32 v13, v13, v26, v15
	v_perm_b32 v14, v23, v11, s0
	v_perm_b32 v15, v25, v12, s0
	ds_write2_b32 v13, v14, v15 offset1:11
.LBB0_25:
	s_or_b64 exec, exec, s[4:5]
	v_cmp_gt_u32_e64 s[0:1], 22, v5
	v_lshrrev_b32_e32 v33, 16, v16
	v_lshrrev_b32_e32 v27, 16, v9
	;; [unrolled: 1-line block ×7, first 2 shown]
	s_waitcnt lgkmcnt(0)
	; wave barrier
	s_waitcnt lgkmcnt(0)
                                        ; implicit-def: $vgpr26
                                        ; implicit-def: $vgpr29
                                        ; implicit-def: $vgpr14
                                        ; implicit-def: $vgpr30
                                        ; implicit-def: $vgpr32
                                        ; implicit-def: $vgpr31
	s_and_saveexec_b64 s[4:5], s[0:1]
	s_cbranch_execz .LBB0_27
; %bb.26:
	v_add_u32_e32 v12, 0x200, v21
	v_add_u32_e32 v14, 0x400, v21
	ds_read2_b32 v[10:11], v21 offset0:198 offset1:220
	ds_read2_b32 v[16:17], v21 offset0:22 offset1:44
	;; [unrolled: 1-line block ×7, first 2 shown]
	ds_read_b32 v22, v20
	ds_read_b32 v31, v21 offset:1320
	s_waitcnt lgkmcnt(8)
	v_lshrrev_b32_e32 v23, 16, v11
	s_waitcnt lgkmcnt(7)
	v_lshrrev_b32_e32 v33, 16, v16
	;; [unrolled: 2-line block ×3, first 2 shown]
	v_lshrrev_b32_e32 v25, 16, v12
	v_lshrrev_b32_e32 v26, 16, v13
	;; [unrolled: 1-line block ×3, first 2 shown]
	s_waitcnt lgkmcnt(0)
	v_lshrrev_b32_e32 v32, 16, v31
	v_lshrrev_b32_e32 v35, 16, v17
	v_lshrrev_b32_e32 v36, 16, v18
	v_lshrrev_b32_e32 v34, 16, v19
	v_lshrrev_b32_e32 v24, 16, v8
	v_lshrrev_b32_e32 v27, 16, v9
	v_lshrrev_b32_e32 v28, 16, v6
.LBB0_27:
	s_or_b64 exec, exec, s[4:5]
	s_waitcnt lgkmcnt(0)
	; wave barrier
	s_waitcnt lgkmcnt(0)
	s_and_saveexec_b64 s[4:5], s[0:1]
	s_cbranch_execz .LBB0_29
; %bb.28:
	v_subrev_u32_e32 v37, 22, v5
	v_cndmask_b32_e64 v37, v37, v5, s[0:1]
	v_mul_i32_i24_e32 v37, 15, v37
	v_mov_b32_e32 v38, 0
	v_lshlrev_b64 v[37:38], 2, v[37:38]
	v_mov_b32_e32 v39, s13
	v_add_co_u32_e64 v52, s[0:1], s12, v37
	v_addc_co_u32_e64 v53, s[0:1], v39, v38, s[0:1]
	global_load_dwordx4 v[37:40], v[52:53], off offset:44
	global_load_dwordx4 v[41:44], v[52:53], off offset:76
	global_load_dwordx4 v[45:48], v[52:53], off offset:60
	global_load_dwordx3 v[49:51], v[52:53], off offset:92
	s_movk_i32 s1, 0x39a8
	s_mov_b32 s0, 0xb9a8
	s_mov_b32 s6, 0xb61f
	s_movk_i32 s7, 0x3b64
	s_mov_b32 s8, 0xbb64
	s_movk_i32 s9, 0x361f
	s_waitcnt vmcnt(3)
	v_mul_f16_sdwa v54, v36, v39 dst_sel:DWORD dst_unused:UNUSED_PAD src0_sel:DWORD src1_sel:WORD_1
	v_mul_f16_sdwa v53, v18, v39 dst_sel:DWORD dst_unused:UNUSED_PAD src0_sel:DWORD src1_sel:WORD_1
	v_fma_f16 v18, v18, v39, v54
	v_mul_f16_sdwa v54, v35, v38 dst_sel:DWORD dst_unused:UNUSED_PAD src0_sel:DWORD src1_sel:WORD_1
	v_mul_f16_sdwa v55, v19, v40 dst_sel:DWORD dst_unused:UNUSED_PAD src0_sel:DWORD src1_sel:WORD_1
	v_fma_f16 v54, v17, v38, v54
	v_mul_f16_sdwa v17, v17, v38 dst_sel:DWORD dst_unused:UNUSED_PAD src0_sel:DWORD src1_sel:WORD_1
	v_fma_f16 v36, v36, v39, -v53
	s_waitcnt vmcnt(0)
	v_mul_f16_sdwa v53, v30, v50 dst_sel:DWORD dst_unused:UNUSED_PAD src0_sel:DWORD src1_sel:WORD_1
	v_mul_f16_sdwa v56, v34, v40 dst_sel:DWORD dst_unused:UNUSED_PAD src0_sel:DWORD src1_sel:WORD_1
	v_fma_f16 v17, v35, v38, -v17
	v_fma_f16 v34, v34, v40, -v55
	v_mul_f16_sdwa v38, v29, v49 dst_sel:DWORD dst_unused:UNUSED_PAD src0_sel:DWORD src1_sel:WORD_1
	v_mul_f16_sdwa v55, v15, v50 dst_sel:DWORD dst_unused:UNUSED_PAD src0_sel:DWORD src1_sel:WORD_1
	v_fma_f16 v15, v15, v50, v53
	v_mul_f16_sdwa v53, v32, v51 dst_sel:DWORD dst_unused:UNUSED_PAD src0_sel:DWORD src1_sel:WORD_1
	v_mul_f16_sdwa v52, v16, v37 dst_sel:DWORD dst_unused:UNUSED_PAD src0_sel:DWORD src1_sel:WORD_1
	v_fma_f16 v19, v19, v40, v56
	v_mul_f16_sdwa v56, v33, v37 dst_sel:DWORD dst_unused:UNUSED_PAD src0_sel:DWORD src1_sel:WORD_1
	v_lshrrev_b32_e32 v39, 16, v7
	v_fma_f16 v38, v14, v49, v38
	v_mul_f16_sdwa v14, v14, v49 dst_sel:DWORD dst_unused:UNUSED_PAD src0_sel:DWORD src1_sel:WORD_1
	v_fma_f16 v53, v31, v51, v53
	v_mul_f16_sdwa v31, v31, v51 dst_sel:DWORD dst_unused:UNUSED_PAD src0_sel:DWORD src1_sel:WORD_1
	v_fma_f16 v16, v16, v37, v56
	v_lshrrev_b32_e32 v56, 16, v10
	v_mul_f16_sdwa v35, v10, v41 dst_sel:DWORD dst_unused:UNUSED_PAD src0_sel:DWORD src1_sel:WORD_1
	v_fma_f16 v33, v33, v37, -v52
	v_mul_f16_sdwa v37, v24, v45 dst_sel:DWORD dst_unused:UNUSED_PAD src0_sel:DWORD src1_sel:WORD_1
	v_mul_f16_sdwa v40, v12, v43 dst_sel:DWORD dst_unused:UNUSED_PAD src0_sel:DWORD src1_sel:WORD_1
	v_fma_f16 v31, v32, v51, -v31
	v_fma_f16 v30, v30, v50, -v55
	v_mul_f16_sdwa v50, v6, v47 dst_sel:DWORD dst_unused:UNUSED_PAD src0_sel:DWORD src1_sel:WORD_1
	v_fma_f16 v14, v29, v49, -v14
	v_mul_f16_sdwa v29, v39, v48 dst_sel:DWORD dst_unused:UNUSED_PAD src0_sel:DWORD src1_sel:WORD_1
	v_mul_f16_sdwa v51, v11, v42 dst_sel:DWORD dst_unused:UNUSED_PAD src0_sel:DWORD src1_sel:WORD_1
	v_mul_f16_sdwa v52, v28, v47 dst_sel:DWORD dst_unused:UNUSED_PAD src0_sel:DWORD src1_sel:WORD_1
	v_mul_f16_sdwa v32, v25, v43 dst_sel:DWORD dst_unused:UNUSED_PAD src0_sel:DWORD src1_sel:WORD_1
	v_mul_f16_sdwa v49, v13, v44 dst_sel:DWORD dst_unused:UNUSED_PAD src0_sel:DWORD src1_sel:WORD_1
	v_mul_f16_sdwa v55, v27, v46 dst_sel:DWORD dst_unused:UNUSED_PAD src0_sel:DWORD src1_sel:WORD_1
	v_fma_f16 v25, v25, v43, -v40
	v_mul_f16_sdwa v40, v23, v42 dst_sel:DWORD dst_unused:UNUSED_PAD src0_sel:DWORD src1_sel:WORD_1
	v_fma_f16 v28, v28, v47, -v50
	v_mul_f16_sdwa v50, v9, v46 dst_sel:DWORD dst_unused:UNUSED_PAD src0_sel:DWORD src1_sel:WORD_1
	;; [unrolled: 2-line block ×4, first 2 shown]
	v_fma_f16 v37, v8, v45, v37
	v_fma_f16 v29, v7, v48, v29
	v_mul_f16_sdwa v8, v8, v45 dst_sel:DWORD dst_unused:UNUSED_PAD src0_sel:DWORD src1_sel:WORD_1
	v_mul_f16_sdwa v7, v7, v48 dst_sel:DWORD dst_unused:UNUSED_PAD src0_sel:DWORD src1_sel:WORD_1
	v_fma_f16 v6, v6, v47, v52
	v_fma_f16 v12, v12, v43, v32
	v_fma_f16 v26, v26, v44, -v49
	v_fma_f16 v9, v9, v46, v55
	v_fma_f16 v11, v11, v42, v40
	v_fma_f16 v27, v27, v46, -v50
	;; [unrolled: 3-line block ×3, first 2 shown]
	v_fma_f16 v7, v39, v48, -v7
	v_lshrrev_b32_e32 v48, 16, v22
	v_sub_f16_e32 v32, v33, v35
	v_sub_f16_e32 v35, v37, v38
	;; [unrolled: 1-line block ×18, first 2 shown]
	v_add_f16_e32 v42, v12, v31
	v_add_f16_e32 v43, v29, v26
	v_sub_f16_e32 v44, v23, v15
	v_add_f16_e32 v46, v11, v30
	v_add_f16_e32 v24, v10, v14
	v_sub_f16_e32 v53, v7, v13
	v_fma_f16 v47, v41, s1, v40
	v_fma_f16 v49, v46, s1, v43
	;; [unrolled: 1-line block ×8, first 2 shown]
	v_fma_f16 v50, v40, 2.0, -v47
	v_fma_f16 v51, v43, 2.0, -v49
	;; [unrolled: 1-line block ×16, first 2 shown]
	v_fma_f16 v39, v52, s6, v51
	v_fma_f16 v41, v25, 2.0, -v41
	v_fma_f16 v44, v23, 2.0, -v44
	;; [unrolled: 1-line block ×3, first 2 shown]
	v_sub_f16_e32 v8, v32, v8
	v_sub_f16_e32 v6, v12, v6
	v_fma_f16 v18, v22, 2.0, -v29
	v_fma_f16 v13, v19, 2.0, -v13
	;; [unrolled: 1-line block ×8, first 2 shown]
	v_sub_f16_e32 v26, v7, v26
	v_sub_f16_e32 v9, v11, v9
	v_fma_f16 v39, v50, s7, v39
	v_fma_f16 v50, v50, s6, v56
	v_sub_f16_e32 v14, v8, v6
	v_sub_f16_e32 v13, v18, v13
	;; [unrolled: 1-line block ×6, first 2 shown]
	v_fma_f16 v50, v52, s8, v50
	v_fma_f16 v52, v41, s0, v40
	v_fma_f16 v43, v29, 2.0, -v43
	v_add_f16_e32 v22, v13, v19
	v_add_f16_e32 v27, v16, v25
	v_fma_f16 v29, v14, s1, v15
	v_fma_f16 v52, v42, s0, v52
	;; [unrolled: 1-line block ×5, first 2 shown]
	v_fma_f16 v34, v13, 2.0, -v22
	v_fma_f16 v27, v16, 2.0, -v27
	v_fma_f16 v41, v41, s1, v42
	v_fma_f16 v42, v46, s0, v43
	;; [unrolled: 1-line block ×3, first 2 shown]
	v_fma_f16 v14, v8, 2.0, -v14
	v_fma_f16 v35, v27, s0, v34
	v_fma_f16 v36, v26, 2.0, -v15
	v_fma_f16 v13, v18, 2.0, -v13
	;; [unrolled: 1-line block ×5, first 2 shown]
	v_fma_f16 v42, v44, s1, v42
	v_fma_f16 v44, v44, s0, v53
	;; [unrolled: 1-line block ×4, first 2 shown]
	v_sub_f16_e32 v9, v13, v9
	v_sub_f16_e32 v11, v8, v11
	v_fma_f16 v7, v7, 2.0, -v26
	v_fma_f16 v17, v17, 2.0, -v19
	;; [unrolled: 1-line block ×4, first 2 shown]
	v_fma_f16 v44, v46, s0, v44
	v_fma_f16 v14, v27, s0, v14
	v_add_f16_e32 v18, v9, v11
	v_sub_f16_e32 v17, v7, v17
	v_sub_f16_e32 v6, v10, v6
	v_fma_f16 v26, v43, 2.0, -v42
	v_fma_f16 v24, v24, 2.0, -v41
	v_sub_f16_e32 v12, v17, v6
	v_fma_f16 v16, v34, 2.0, -v35
	v_fma_f16 v19, v36, 2.0, -v14
	;; [unrolled: 1-line block ×4, first 2 shown]
	v_fma_f16 v34, v24, s8, v26
	v_fma_f16 v36, v53, 2.0, -v44
	v_fma_f16 v9, v13, 2.0, -v9
	;; [unrolled: 1-line block ×5, first 2 shown]
	v_fma_f16 v46, v45, s7, v49
	v_fma_f16 v34, v32, s9, v34
	;; [unrolled: 1-line block ×3, first 2 shown]
	v_sub_f16_e32 v6, v9, v6
	v_sub_f16_e32 v8, v7, v8
	v_fma_f16 v46, v47, s9, v46
	v_fma_f16 v47, v47, s7, v55
	;; [unrolled: 1-line block ×3, first 2 shown]
	v_fma_f16 v9, v9, 2.0, -v6
	v_fma_f16 v7, v7, 2.0, -v8
	v_fma_f16 v45, v45, s6, v47
	v_fma_f16 v47, v41, s9, v42
	;; [unrolled: 1-line block ×3, first 2 shown]
	v_fma_f16 v26, v26, 2.0, -v34
	v_fma_f16 v32, v36, 2.0, -v24
	v_pack_b32_f16 v7, v9, v7
	v_fma_f16 v47, v52, s7, v47
	v_fma_f16 v33, v41, s8, v33
	v_fma_f16 v27, v51, 2.0, -v39
	v_fma_f16 v37, v56, 2.0, -v50
	;; [unrolled: 1-line block ×3, first 2 shown]
	ds_write_b32 v20, v7
	v_pack_b32_f16 v7, v26, v32
	v_pack_b32_f16 v9, v16, v19
	v_fma_f16 v30, v42, 2.0, -v47
	v_fma_f16 v31, v44, 2.0, -v33
	;; [unrolled: 1-line block ×4, first 2 shown]
	ds_write2_b32 v21, v7, v9 offset0:22 offset1:44
	v_pack_b32_f16 v7, v27, v37
	v_pack_b32_f16 v9, v23, v25
	v_fma_f16 v49, v49, 2.0, -v46
	v_fma_f16 v55, v55, 2.0, -v45
	ds_write2_b32 v21, v7, v9 offset0:66 offset1:88
	v_pack_b32_f16 v7, v30, v31
	v_pack_b32_f16 v9, v10, v11
	ds_write2_b32 v21, v7, v9 offset0:110 offset1:132
	v_pack_b32_f16 v7, v49, v55
	v_pack_b32_f16 v6, v6, v8
	ds_write2_b32 v21, v7, v6 offset0:154 offset1:176
	v_pack_b32_f16 v6, v34, v24
	v_pack_b32_f16 v7, v35, v14
	ds_write2_b32 v21, v6, v7 offset0:198 offset1:220
	v_pack_b32_f16 v6, v39, v50
	v_pack_b32_f16 v7, v18, v12
	v_add_u32_e32 v8, 0x200, v21
	ds_write2_b32 v8, v6, v7 offset0:114 offset1:136
	v_pack_b32_f16 v6, v47, v33
	v_pack_b32_f16 v7, v28, v29
	v_add_u32_e32 v8, 0x400, v21
	ds_write2_b32 v8, v6, v7 offset0:30 offset1:52
	v_pack_b32_f16 v6, v46, v45
	ds_write_b32 v21, v6 offset:1320
.LBB0_29:
	s_or_b64 exec, exec, s[4:5]
	s_waitcnt lgkmcnt(0)
	; wave barrier
	s_waitcnt lgkmcnt(0)
	s_and_saveexec_b64 s[0:1], vcc
	s_cbranch_execz .LBB0_31
; %bb.30:
	v_mul_lo_u32 v6, s3, v3
	v_mul_lo_u32 v7, s2, v4
	v_mad_u64_u32 v[3:4], s[0:1], s2, v3, 0
	v_lshl_add_u32 v9, v5, 2, v0
	v_mov_b32_e32 v0, s11
	v_add3_u32 v4, v4, v7, v6
	v_lshlrev_b64 v[3:4], 2, v[3:4]
	v_mov_b32_e32 v6, 0
	v_add_co_u32_e32 v3, vcc, s10, v3
	v_addc_co_u32_e32 v4, vcc, v0, v4, vcc
	v_lshlrev_b64 v[0:1], 2, v[1:2]
	ds_read2_b32 v[7:8], v9 offset1:32
	v_add_co_u32_e32 v10, vcc, v3, v0
	v_addc_co_u32_e32 v4, vcc, v4, v1, vcc
	v_lshlrev_b64 v[0:1], 2, v[5:6]
	ds_read2_b32 v[2:3], v9 offset0:64 offset1:96
	v_add_co_u32_e32 v0, vcc, v10, v0
	v_addc_co_u32_e32 v1, vcc, v4, v1, vcc
	s_waitcnt lgkmcnt(1)
	global_store_dword v[0:1], v7, off
	v_add_u32_e32 v0, 32, v5
	v_mov_b32_e32 v1, v6
	v_lshlrev_b64 v[0:1], 2, v[0:1]
	v_add_co_u32_e32 v0, vcc, v10, v0
	v_addc_co_u32_e32 v1, vcc, v4, v1, vcc
	global_store_dword v[0:1], v8, off
	v_add_u32_e32 v0, 64, v5
	v_mov_b32_e32 v1, v6
	v_lshlrev_b64 v[0:1], 2, v[0:1]
	v_add_co_u32_e32 v0, vcc, v10, v0
	v_addc_co_u32_e32 v1, vcc, v4, v1, vcc
	s_waitcnt lgkmcnt(0)
	global_store_dword v[0:1], v2, off
	v_add_u32_e32 v0, 0x60, v5
	v_mov_b32_e32 v1, v6
	v_lshlrev_b64 v[0:1], 2, v[0:1]
	v_add_co_u32_e32 v0, vcc, v10, v0
	v_addc_co_u32_e32 v1, vcc, v4, v1, vcc
	global_store_dword v[0:1], v3, off
	v_add_u32_e32 v0, 0x80, v5
	v_mov_b32_e32 v1, v6
	ds_read2_b32 v[2:3], v9 offset0:128 offset1:160
	v_lshlrev_b64 v[0:1], 2, v[0:1]
	v_add_co_u32_e32 v0, vcc, v10, v0
	v_addc_co_u32_e32 v1, vcc, v4, v1, vcc
	s_waitcnt lgkmcnt(0)
	global_store_dword v[0:1], v2, off
	v_add_u32_e32 v0, 0xa0, v5
	v_mov_b32_e32 v1, v6
	v_lshlrev_b64 v[0:1], 2, v[0:1]
	v_add_co_u32_e32 v0, vcc, v10, v0
	v_addc_co_u32_e32 v1, vcc, v4, v1, vcc
	global_store_dword v[0:1], v3, off
	v_add_u32_e32 v0, 0xc0, v5
	v_mov_b32_e32 v1, v6
	ds_read2_b32 v[2:3], v9 offset0:192 offset1:224
	v_lshlrev_b64 v[0:1], 2, v[0:1]
	v_add_co_u32_e32 v0, vcc, v10, v0
	v_addc_co_u32_e32 v1, vcc, v4, v1, vcc
	s_waitcnt lgkmcnt(0)
	global_store_dword v[0:1], v2, off
	v_add_u32_e32 v0, 0xe0, v5
	v_mov_b32_e32 v1, v6
	v_lshlrev_b64 v[0:1], 2, v[0:1]
	v_add_u32_e32 v2, 0x400, v9
	v_add_co_u32_e32 v0, vcc, v10, v0
	v_addc_co_u32_e32 v1, vcc, v4, v1, vcc
	global_store_dword v[0:1], v3, off
	v_add_u32_e32 v0, 0x100, v5
	v_mov_b32_e32 v1, v6
	ds_read2_b32 v[2:3], v2 offset1:32
	v_lshlrev_b64 v[0:1], 2, v[0:1]
	v_add_co_u32_e32 v0, vcc, v10, v0
	v_addc_co_u32_e32 v1, vcc, v4, v1, vcc
	s_waitcnt lgkmcnt(0)
	global_store_dword v[0:1], v2, off
	v_add_u32_e32 v0, 0x120, v5
	v_mov_b32_e32 v1, v6
	v_lshlrev_b64 v[0:1], 2, v[0:1]
	v_add_u32_e32 v5, 0x140, v5
	v_add_co_u32_e32 v0, vcc, v10, v0
	v_addc_co_u32_e32 v1, vcc, v4, v1, vcc
	ds_read_b32 v2, v9 offset:1280
	global_store_dword v[0:1], v3, off
	v_lshlrev_b64 v[0:1], 2, v[5:6]
	v_add_co_u32_e32 v0, vcc, v10, v0
	v_addc_co_u32_e32 v1, vcc, v4, v1, vcc
	s_waitcnt lgkmcnt(0)
	global_store_dword v[0:1], v2, off
.LBB0_31:
	s_endpgm
	.section	.rodata,"a",@progbits
	.p2align	6, 0x0
	.amdhsa_kernel fft_rtc_back_len352_factors_11_2_16_wgs_64_tpt_32_half_op_CI_CI_unitstride_sbrr_C2R_dirReg
		.amdhsa_group_segment_fixed_size 0
		.amdhsa_private_segment_fixed_size 0
		.amdhsa_kernarg_size 104
		.amdhsa_user_sgpr_count 6
		.amdhsa_user_sgpr_private_segment_buffer 1
		.amdhsa_user_sgpr_dispatch_ptr 0
		.amdhsa_user_sgpr_queue_ptr 0
		.amdhsa_user_sgpr_kernarg_segment_ptr 1
		.amdhsa_user_sgpr_dispatch_id 0
		.amdhsa_user_sgpr_flat_scratch_init 0
		.amdhsa_user_sgpr_private_segment_size 0
		.amdhsa_uses_dynamic_stack 0
		.amdhsa_system_sgpr_private_segment_wavefront_offset 0
		.amdhsa_system_sgpr_workgroup_id_x 1
		.amdhsa_system_sgpr_workgroup_id_y 0
		.amdhsa_system_sgpr_workgroup_id_z 0
		.amdhsa_system_sgpr_workgroup_info 0
		.amdhsa_system_vgpr_workitem_id 0
		.amdhsa_next_free_vgpr 59
		.amdhsa_next_free_sgpr 28
		.amdhsa_reserve_vcc 1
		.amdhsa_reserve_flat_scratch 0
		.amdhsa_float_round_mode_32 0
		.amdhsa_float_round_mode_16_64 0
		.amdhsa_float_denorm_mode_32 3
		.amdhsa_float_denorm_mode_16_64 3
		.amdhsa_dx10_clamp 1
		.amdhsa_ieee_mode 1
		.amdhsa_fp16_overflow 0
		.amdhsa_exception_fp_ieee_invalid_op 0
		.amdhsa_exception_fp_denorm_src 0
		.amdhsa_exception_fp_ieee_div_zero 0
		.amdhsa_exception_fp_ieee_overflow 0
		.amdhsa_exception_fp_ieee_underflow 0
		.amdhsa_exception_fp_ieee_inexact 0
		.amdhsa_exception_int_div_zero 0
	.end_amdhsa_kernel
	.text
.Lfunc_end0:
	.size	fft_rtc_back_len352_factors_11_2_16_wgs_64_tpt_32_half_op_CI_CI_unitstride_sbrr_C2R_dirReg, .Lfunc_end0-fft_rtc_back_len352_factors_11_2_16_wgs_64_tpt_32_half_op_CI_CI_unitstride_sbrr_C2R_dirReg
                                        ; -- End function
	.section	.AMDGPU.csdata,"",@progbits
; Kernel info:
; codeLenInByte = 8400
; NumSgprs: 32
; NumVgprs: 59
; ScratchSize: 0
; MemoryBound: 0
; FloatMode: 240
; IeeeMode: 1
; LDSByteSize: 0 bytes/workgroup (compile time only)
; SGPRBlocks: 3
; VGPRBlocks: 14
; NumSGPRsForWavesPerEU: 32
; NumVGPRsForWavesPerEU: 59
; Occupancy: 4
; WaveLimiterHint : 1
; COMPUTE_PGM_RSRC2:SCRATCH_EN: 0
; COMPUTE_PGM_RSRC2:USER_SGPR: 6
; COMPUTE_PGM_RSRC2:TRAP_HANDLER: 0
; COMPUTE_PGM_RSRC2:TGID_X_EN: 1
; COMPUTE_PGM_RSRC2:TGID_Y_EN: 0
; COMPUTE_PGM_RSRC2:TGID_Z_EN: 0
; COMPUTE_PGM_RSRC2:TIDIG_COMP_CNT: 0
	.type	__hip_cuid_83b2a3e9072412be,@object ; @__hip_cuid_83b2a3e9072412be
	.section	.bss,"aw",@nobits
	.globl	__hip_cuid_83b2a3e9072412be
__hip_cuid_83b2a3e9072412be:
	.byte	0                               ; 0x0
	.size	__hip_cuid_83b2a3e9072412be, 1

	.ident	"AMD clang version 19.0.0git (https://github.com/RadeonOpenCompute/llvm-project roc-6.4.0 25133 c7fe45cf4b819c5991fe208aaa96edf142730f1d)"
	.section	".note.GNU-stack","",@progbits
	.addrsig
	.addrsig_sym __hip_cuid_83b2a3e9072412be
	.amdgpu_metadata
---
amdhsa.kernels:
  - .args:
      - .actual_access:  read_only
        .address_space:  global
        .offset:         0
        .size:           8
        .value_kind:     global_buffer
      - .offset:         8
        .size:           8
        .value_kind:     by_value
      - .actual_access:  read_only
        .address_space:  global
        .offset:         16
        .size:           8
        .value_kind:     global_buffer
      - .actual_access:  read_only
        .address_space:  global
        .offset:         24
        .size:           8
        .value_kind:     global_buffer
      - .actual_access:  read_only
        .address_space:  global
        .offset:         32
        .size:           8
        .value_kind:     global_buffer
      - .offset:         40
        .size:           8
        .value_kind:     by_value
      - .actual_access:  read_only
        .address_space:  global
        .offset:         48
        .size:           8
        .value_kind:     global_buffer
      - .actual_access:  read_only
        .address_space:  global
        .offset:         56
        .size:           8
        .value_kind:     global_buffer
      - .offset:         64
        .size:           4
        .value_kind:     by_value
      - .actual_access:  read_only
        .address_space:  global
        .offset:         72
        .size:           8
        .value_kind:     global_buffer
      - .actual_access:  read_only
        .address_space:  global
        .offset:         80
        .size:           8
        .value_kind:     global_buffer
      - .actual_access:  read_only
        .address_space:  global
        .offset:         88
        .size:           8
        .value_kind:     global_buffer
      - .actual_access:  write_only
        .address_space:  global
        .offset:         96
        .size:           8
        .value_kind:     global_buffer
    .group_segment_fixed_size: 0
    .kernarg_segment_align: 8
    .kernarg_segment_size: 104
    .language:       OpenCL C
    .language_version:
      - 2
      - 0
    .max_flat_workgroup_size: 64
    .name:           fft_rtc_back_len352_factors_11_2_16_wgs_64_tpt_32_half_op_CI_CI_unitstride_sbrr_C2R_dirReg
    .private_segment_fixed_size: 0
    .sgpr_count:     32
    .sgpr_spill_count: 0
    .symbol:         fft_rtc_back_len352_factors_11_2_16_wgs_64_tpt_32_half_op_CI_CI_unitstride_sbrr_C2R_dirReg.kd
    .uniform_work_group_size: 1
    .uses_dynamic_stack: false
    .vgpr_count:     59
    .vgpr_spill_count: 0
    .wavefront_size: 64
amdhsa.target:   amdgcn-amd-amdhsa--gfx906
amdhsa.version:
  - 1
  - 2
...

	.end_amdgpu_metadata
